;; amdgpu-corpus repo=ROCm/rocFFT kind=compiled arch=gfx1030 opt=O3
	.text
	.amdgcn_target "amdgcn-amd-amdhsa--gfx1030"
	.amdhsa_code_object_version 6
	.protected	fft_rtc_fwd_len10_factors_10_wgs_64_tpt_1_dp_op_CI_CI_unitstride_sbrr_R2C_dirReg ; -- Begin function fft_rtc_fwd_len10_factors_10_wgs_64_tpt_1_dp_op_CI_CI_unitstride_sbrr_R2C_dirReg
	.globl	fft_rtc_fwd_len10_factors_10_wgs_64_tpt_1_dp_op_CI_CI_unitstride_sbrr_R2C_dirReg
	.p2align	8
	.type	fft_rtc_fwd_len10_factors_10_wgs_64_tpt_1_dp_op_CI_CI_unitstride_sbrr_R2C_dirReg,@function
fft_rtc_fwd_len10_factors_10_wgs_64_tpt_1_dp_op_CI_CI_unitstride_sbrr_R2C_dirReg: ; @fft_rtc_fwd_len10_factors_10_wgs_64_tpt_1_dp_op_CI_CI_unitstride_sbrr_R2C_dirReg
; %bb.0:
	s_clause 0x2
	s_load_dwordx4 s[8:11], s[4:5], 0x0
	s_load_dwordx4 s[16:19], s[4:5], 0x58
	;; [unrolled: 1-line block ×3, first 2 shown]
	v_mov_b32_e32 v7, 0
	v_mov_b32_e32 v5, 0
	v_lshl_or_b32 v9, s6, 6, v0
	v_mov_b32_e32 v6, 0
	v_mov_b32_e32 v10, v7
	s_waitcnt lgkmcnt(0)
	v_cmp_lt_u64_e64 s0, s[10:11], 2
	s_and_b32 vcc_lo, exec_lo, s0
	s_cbranch_vccnz .LBB0_8
; %bb.1:
	s_load_dwordx2 s[0:1], s[4:5], 0x10
	v_mov_b32_e32 v5, 0
	v_mov_b32_e32 v6, 0
	s_add_u32 s2, s14, 8
	s_addc_u32 s3, s15, 0
	v_mov_b32_e32 v1, v5
	s_add_u32 s6, s12, 8
	v_mov_b32_e32 v2, v6
	s_addc_u32 s7, s13, 0
	s_mov_b64 s[22:23], 1
	s_waitcnt lgkmcnt(0)
	s_add_u32 s20, s0, 8
	s_addc_u32 s21, s1, 0
.LBB0_2:                                ; =>This Inner Loop Header: Depth=1
	s_load_dwordx2 s[24:25], s[20:21], 0x0
                                        ; implicit-def: $vgpr3_vgpr4
	s_mov_b32 s0, exec_lo
	s_waitcnt lgkmcnt(0)
	v_or_b32_e32 v8, s25, v10
	v_cmpx_ne_u64_e32 0, v[7:8]
	s_xor_b32 s1, exec_lo, s0
	s_cbranch_execz .LBB0_4
; %bb.3:                                ;   in Loop: Header=BB0_2 Depth=1
	v_cvt_f32_u32_e32 v3, s24
	v_cvt_f32_u32_e32 v4, s25
	s_sub_u32 s0, 0, s24
	s_subb_u32 s26, 0, s25
	v_fmac_f32_e32 v3, 0x4f800000, v4
	v_rcp_f32_e32 v3, v3
	v_mul_f32_e32 v3, 0x5f7ffffc, v3
	v_mul_f32_e32 v4, 0x2f800000, v3
	v_trunc_f32_e32 v4, v4
	v_fmac_f32_e32 v3, 0xcf800000, v4
	v_cvt_u32_f32_e32 v4, v4
	v_cvt_u32_f32_e32 v3, v3
	v_mul_lo_u32 v8, s0, v4
	v_mul_hi_u32 v11, s0, v3
	v_mul_lo_u32 v12, s26, v3
	v_add_nc_u32_e32 v8, v11, v8
	v_mul_lo_u32 v11, s0, v3
	v_add_nc_u32_e32 v8, v8, v12
	v_mul_hi_u32 v12, v3, v11
	v_mul_lo_u32 v13, v3, v8
	v_mul_hi_u32 v14, v3, v8
	v_mul_hi_u32 v15, v4, v11
	v_mul_lo_u32 v11, v4, v11
	v_mul_hi_u32 v16, v4, v8
	v_mul_lo_u32 v8, v4, v8
	v_add_co_u32 v12, vcc_lo, v12, v13
	v_add_co_ci_u32_e32 v13, vcc_lo, 0, v14, vcc_lo
	v_add_co_u32 v11, vcc_lo, v12, v11
	v_add_co_ci_u32_e32 v11, vcc_lo, v13, v15, vcc_lo
	v_add_co_ci_u32_e32 v12, vcc_lo, 0, v16, vcc_lo
	v_add_co_u32 v8, vcc_lo, v11, v8
	v_add_co_ci_u32_e32 v11, vcc_lo, 0, v12, vcc_lo
	v_add_co_u32 v3, vcc_lo, v3, v8
	v_add_co_ci_u32_e32 v4, vcc_lo, v4, v11, vcc_lo
	v_mul_hi_u32 v8, s0, v3
	v_mul_lo_u32 v12, s26, v3
	v_mul_lo_u32 v11, s0, v4
	v_add_nc_u32_e32 v8, v8, v11
	v_mul_lo_u32 v11, s0, v3
	v_add_nc_u32_e32 v8, v8, v12
	v_mul_hi_u32 v12, v3, v11
	v_mul_lo_u32 v13, v3, v8
	v_mul_hi_u32 v14, v3, v8
	v_mul_hi_u32 v15, v4, v11
	v_mul_lo_u32 v11, v4, v11
	v_mul_hi_u32 v16, v4, v8
	v_mul_lo_u32 v8, v4, v8
	v_add_co_u32 v12, vcc_lo, v12, v13
	v_add_co_ci_u32_e32 v13, vcc_lo, 0, v14, vcc_lo
	v_add_co_u32 v11, vcc_lo, v12, v11
	v_add_co_ci_u32_e32 v11, vcc_lo, v13, v15, vcc_lo
	v_add_co_ci_u32_e32 v12, vcc_lo, 0, v16, vcc_lo
	v_add_co_u32 v8, vcc_lo, v11, v8
	v_add_co_ci_u32_e32 v11, vcc_lo, 0, v12, vcc_lo
	v_add_co_u32 v8, vcc_lo, v3, v8
	v_add_co_ci_u32_e32 v13, vcc_lo, v4, v11, vcc_lo
	v_mul_hi_u32 v15, v9, v8
	v_mad_u64_u32 v[11:12], null, v10, v8, 0
	v_mad_u64_u32 v[3:4], null, v9, v13, 0
	;; [unrolled: 1-line block ×3, first 2 shown]
	v_add_co_u32 v3, vcc_lo, v15, v3
	v_add_co_ci_u32_e32 v4, vcc_lo, 0, v4, vcc_lo
	v_add_co_u32 v3, vcc_lo, v3, v11
	v_add_co_ci_u32_e32 v3, vcc_lo, v4, v12, vcc_lo
	v_add_co_ci_u32_e32 v4, vcc_lo, 0, v14, vcc_lo
	v_add_co_u32 v8, vcc_lo, v3, v13
	v_add_co_ci_u32_e32 v11, vcc_lo, 0, v4, vcc_lo
	v_mul_lo_u32 v12, s25, v8
	v_mad_u64_u32 v[3:4], null, s24, v8, 0
	v_mul_lo_u32 v13, s24, v11
	v_sub_co_u32 v3, vcc_lo, v9, v3
	v_add3_u32 v4, v4, v13, v12
	v_sub_nc_u32_e32 v12, v10, v4
	v_subrev_co_ci_u32_e64 v12, s0, s25, v12, vcc_lo
	v_add_co_u32 v13, s0, v8, 2
	v_add_co_ci_u32_e64 v14, s0, 0, v11, s0
	v_sub_co_u32 v15, s0, v3, s24
	v_sub_co_ci_u32_e32 v4, vcc_lo, v10, v4, vcc_lo
	v_subrev_co_ci_u32_e64 v12, s0, 0, v12, s0
	v_cmp_le_u32_e32 vcc_lo, s24, v15
	v_cmp_eq_u32_e64 s0, s25, v4
	v_cndmask_b32_e64 v15, 0, -1, vcc_lo
	v_cmp_le_u32_e32 vcc_lo, s25, v12
	v_cndmask_b32_e64 v16, 0, -1, vcc_lo
	v_cmp_le_u32_e32 vcc_lo, s24, v3
	;; [unrolled: 2-line block ×3, first 2 shown]
	v_cndmask_b32_e64 v17, 0, -1, vcc_lo
	v_cmp_eq_u32_e32 vcc_lo, s25, v12
	v_cndmask_b32_e64 v3, v17, v3, s0
	v_cndmask_b32_e32 v12, v16, v15, vcc_lo
	v_add_co_u32 v15, vcc_lo, v8, 1
	v_add_co_ci_u32_e32 v16, vcc_lo, 0, v11, vcc_lo
	v_cmp_ne_u32_e32 vcc_lo, 0, v12
	v_cndmask_b32_e32 v4, v16, v14, vcc_lo
	v_cndmask_b32_e32 v12, v15, v13, vcc_lo
	v_cmp_ne_u32_e32 vcc_lo, 0, v3
	v_cndmask_b32_e32 v4, v11, v4, vcc_lo
	v_cndmask_b32_e32 v3, v8, v12, vcc_lo
.LBB0_4:                                ;   in Loop: Header=BB0_2 Depth=1
	s_andn2_saveexec_b32 s0, s1
	s_cbranch_execz .LBB0_6
; %bb.5:                                ;   in Loop: Header=BB0_2 Depth=1
	v_cvt_f32_u32_e32 v3, s24
	s_sub_i32 s1, 0, s24
	v_rcp_iflag_f32_e32 v3, v3
	v_mul_f32_e32 v3, 0x4f7ffffe, v3
	v_cvt_u32_f32_e32 v3, v3
	v_mul_lo_u32 v4, s1, v3
	v_mul_hi_u32 v4, v3, v4
	v_add_nc_u32_e32 v3, v3, v4
	v_mul_hi_u32 v3, v9, v3
	v_mul_lo_u32 v4, v3, s24
	v_add_nc_u32_e32 v8, 1, v3
	v_sub_nc_u32_e32 v4, v9, v4
	v_subrev_nc_u32_e32 v11, s24, v4
	v_cmp_le_u32_e32 vcc_lo, s24, v4
	v_cndmask_b32_e32 v4, v4, v11, vcc_lo
	v_cndmask_b32_e32 v3, v3, v8, vcc_lo
	v_cmp_le_u32_e32 vcc_lo, s24, v4
	v_add_nc_u32_e32 v8, 1, v3
	v_mov_b32_e32 v4, v7
	v_cndmask_b32_e32 v3, v3, v8, vcc_lo
.LBB0_6:                                ;   in Loop: Header=BB0_2 Depth=1
	s_or_b32 exec_lo, exec_lo, s0
	v_mul_lo_u32 v8, v4, s24
	v_mul_lo_u32 v13, v3, s25
	s_load_dwordx2 s[0:1], s[6:7], 0x0
	v_mad_u64_u32 v[11:12], null, v3, s24, 0
	s_load_dwordx2 s[24:25], s[2:3], 0x0
	s_add_u32 s22, s22, 1
	s_addc_u32 s23, s23, 0
	s_add_u32 s2, s2, 8
	s_addc_u32 s3, s3, 0
	s_add_u32 s6, s6, 8
	v_add3_u32 v8, v12, v13, v8
	v_sub_co_u32 v9, vcc_lo, v9, v11
	s_addc_u32 s7, s7, 0
	s_add_u32 s20, s20, 8
	v_sub_co_ci_u32_e32 v8, vcc_lo, v10, v8, vcc_lo
	s_addc_u32 s21, s21, 0
	s_waitcnt lgkmcnt(0)
	v_mul_lo_u32 v10, s0, v8
	v_mul_lo_u32 v11, s1, v9
	v_mad_u64_u32 v[5:6], null, s0, v9, v[5:6]
	v_mul_lo_u32 v8, s24, v8
	v_mul_lo_u32 v12, s25, v9
	v_mad_u64_u32 v[1:2], null, s24, v9, v[1:2]
	v_cmp_ge_u64_e64 s0, s[22:23], s[10:11]
	v_add3_u32 v6, v11, v6, v10
	v_add3_u32 v2, v12, v2, v8
	s_and_b32 vcc_lo, exec_lo, s0
	s_cbranch_vccnz .LBB0_9
; %bb.7:                                ;   in Loop: Header=BB0_2 Depth=1
	v_mov_b32_e32 v10, v4
	v_mov_b32_e32 v9, v3
	s_branch .LBB0_2
.LBB0_8:
	v_mov_b32_e32 v1, v5
	v_mov_b32_e32 v3, v9
	;; [unrolled: 1-line block ×4, first 2 shown]
.LBB0_9:
	s_load_dwordx2 s[2:3], s[4:5], 0x28
	v_mul_u32_u24_e32 v0, 11, v0
	s_lshl_b64 s[0:1], s[10:11], 3
	v_lshl_add_u32 v0, v0, 4, 0
	s_waitcnt lgkmcnt(0)
	v_cmp_gt_u64_e32 vcc_lo, s[2:3], v[3:4]
	s_add_u32 s2, s14, s0
	s_addc_u32 s3, s15, s1
	s_and_saveexec_b32 s4, vcc_lo
	s_cbranch_execz .LBB0_11
; %bb.10:
	s_add_u32 s0, s12, s0
	s_addc_u32 s1, s13, s1
	v_lshlrev_b64 v[5:6], 4, v[5:6]
	s_load_dwordx2 s[0:1], s[0:1], 0x0
	s_waitcnt lgkmcnt(0)
	v_mul_lo_u32 v9, s1, v3
	v_mul_lo_u32 v10, s0, v4
	v_mad_u64_u32 v[7:8], null, s0, v3, 0
	v_add3_u32 v8, v8, v10, v9
	v_lshlrev_b64 v[7:8], 4, v[7:8]
	v_add_co_u32 v7, s0, s16, v7
	v_add_co_ci_u32_e64 v8, s0, s17, v8, s0
	v_add_co_u32 v41, s0, v7, v5
	v_add_co_ci_u32_e64 v42, s0, v8, v6, s0
	s_clause 0x9
	global_load_dwordx4 v[5:8], v[41:42], off
	global_load_dwordx4 v[9:12], v[41:42], off offset:16
	global_load_dwordx4 v[13:16], v[41:42], off offset:32
	;; [unrolled: 1-line block ×9, first 2 shown]
	s_waitcnt vmcnt(9)
	ds_write_b128 v0, v[5:8]
	s_waitcnt vmcnt(8)
	ds_write_b128 v0, v[9:12] offset:16
	s_waitcnt vmcnt(7)
	ds_write_b128 v0, v[13:16] offset:32
	;; [unrolled: 2-line block ×9, first 2 shown]
.LBB0_11:
	s_or_b32 exec_lo, exec_lo, s4
	s_load_dwordx2 s[16:17], s[2:3], 0x0
	s_waitcnt lgkmcnt(0)
	s_barrier
	buffer_gl0_inv
	ds_read_b128 v[5:8], v0 offset:80
	ds_read_b128 v[9:12], v0 offset:112
	;; [unrolled: 1-line block ×5, first 2 shown]
	ds_read_b128 v[25:28], v0
	ds_read_b128 v[29:32], v0 offset:64
	ds_read_b128 v[33:36], v0 offset:96
	;; [unrolled: 1-line block ×4, first 2 shown]
	s_mov_b32 s2, 0x134454ff
	s_mov_b32 s3, 0x3fee6f0e
	;; [unrolled: 1-line block ×11, first 2 shown]
	s_waitcnt lgkmcnt(8)
	v_add_f64 v[45:46], v[5:6], v[9:10]
	v_add_f64 v[51:52], v[7:8], v[11:12]
	s_waitcnt lgkmcnt(6)
	v_add_f64 v[49:50], v[15:16], v[19:20]
	v_add_f64 v[47:48], v[13:14], v[17:18]
	v_add_f64 v[67:68], v[15:16], -v[19:20]
	v_add_f64 v[75:76], v[5:6], -v[9:10]
	s_waitcnt lgkmcnt(2)
	v_add_f64 v[57:58], v[29:30], v[33:34]
	s_waitcnt lgkmcnt(1)
	v_add_f64 v[59:60], v[21:22], v[37:38]
	v_add_f64 v[61:62], v[31:32], v[35:36]
	;; [unrolled: 1-line block ×3, first 2 shown]
	v_add_f64 v[73:74], v[7:8], -v[11:12]
	v_add_f64 v[77:78], v[13:14], -v[5:6]
	;; [unrolled: 1-line block ×6, first 2 shown]
	v_add_f64 v[53:54], v[25:26], v[21:22]
	v_add_f64 v[55:56], v[27:28], v[23:24]
	v_add_f64 v[87:88], v[7:8], -v[15:16]
	v_add_f64 v[89:90], v[11:12], -v[19:20]
	s_waitcnt lgkmcnt(0)
	v_add_f64 v[13:14], v[41:42], v[13:14]
	v_add_f64 v[91:92], v[19:20], -v[11:12]
	v_fma_f64 v[45:46], v[45:46], -0.5, v[41:42]
	v_fma_f64 v[51:52], v[51:52], -0.5, v[43:44]
	;; [unrolled: 1-line block ×4, first 2 shown]
	v_add_f64 v[41:42], v[43:44], v[15:16]
	v_add_f64 v[15:16], v[15:16], -v[7:8]
	v_fma_f64 v[57:58], v[57:58], -0.5, v[25:26]
	v_fma_f64 v[25:26], v[59:60], -0.5, v[25:26]
	;; [unrolled: 1-line block ×4, first 2 shown]
	v_add_f64 v[65:66], v[23:24], -v[39:40]
	v_add_f64 v[69:70], v[21:22], -v[29:30]
	v_add_f64 v[77:78], v[77:78], v[79:80]
	v_add_f64 v[71:72], v[29:30], -v[21:22]
	v_add_f64 v[79:80], v[81:82], v[83:84]
	v_add_f64 v[21:22], v[21:22], -v[37:38]
	v_add_f64 v[83:84], v[37:38], -v[33:34]
	;; [unrolled: 1-line block ×4, first 2 shown]
	v_add_f64 v[87:88], v[87:88], v[89:90]
	v_add_f64 v[89:90], v[33:34], -v[37:38]
	v_add_f64 v[5:6], v[13:14], v[5:6]
	v_fma_f64 v[93:94], v[67:68], s[2:3], v[45:46]
	v_fma_f64 v[45:46], v[67:68], s[0:1], v[45:46]
	v_fma_f64 v[63:64], v[75:76], s[2:3], v[49:50]
	v_fma_f64 v[61:62], v[73:74], s[0:1], v[47:48]
	v_fma_f64 v[47:48], v[73:74], s[2:3], v[47:48]
	v_fma_f64 v[49:50], v[75:76], s[0:1], v[49:50]
	v_fma_f64 v[81:82], v[85:86], s[2:3], v[51:52]
	v_add_f64 v[15:16], v[15:16], v[91:92]
	v_add_f64 v[91:92], v[31:32], -v[35:36]
	v_fma_f64 v[51:52], v[85:86], s[0:1], v[51:52]
	v_add_f64 v[31:32], v[55:56], v[31:32]
	v_add_f64 v[7:8], v[41:42], v[7:8]
	v_fma_f64 v[13:14], v[65:66], s[2:3], v[57:58]
	v_fma_f64 v[41:42], v[65:66], s[0:1], v[57:58]
	s_mov_b32 s13, 0x3fe9e377
	v_add_f64 v[55:56], v[69:70], v[83:84]
	s_barrier
	buffer_gl0_inv
	v_add_f64 v[69:70], v[71:72], v[89:90]
	v_fma_f64 v[71:72], v[21:22], s[0:1], v[59:60]
	v_fma_f64 v[93:94], v[73:74], s[4:5], v[93:94]
	;; [unrolled: 1-line block ×3, first 2 shown]
	v_add_f64 v[73:74], v[29:30], -v[33:34]
	v_fma_f64 v[63:64], v[85:86], s[6:7], v[63:64]
	v_fma_f64 v[61:62], v[67:68], s[4:5], v[61:62]
	;; [unrolled: 1-line block ×4, first 2 shown]
	v_add_f64 v[29:30], v[53:54], v[29:30]
	v_fma_f64 v[53:54], v[75:76], s[4:5], v[81:82]
	v_add_f64 v[67:68], v[39:40], -v[35:36]
	v_add_f64 v[85:86], v[35:36], -v[39:40]
	v_fma_f64 v[57:58], v[91:92], s[0:1], v[25:26]
	v_fma_f64 v[25:26], v[91:92], s[2:3], v[25:26]
	;; [unrolled: 1-line block ×4, first 2 shown]
	v_add_f64 v[31:32], v[31:32], v[35:36]
	v_add_f64 v[5:6], v[5:6], v[9:10]
	;; [unrolled: 1-line block ×3, first 2 shown]
	v_fma_f64 v[9:10], v[91:92], s[4:5], v[13:14]
	v_fma_f64 v[11:12], v[91:92], s[6:7], v[41:42]
	;; [unrolled: 1-line block ×11, first 2 shown]
	v_add_f64 v[29:30], v[29:30], v[33:34]
	v_add_f64 v[43:44], v[43:44], v[67:68]
	v_add_f64 v[23:24], v[23:24], v[85:86]
	v_fma_f64 v[13:14], v[65:66], s[4:5], v[57:58]
	v_fma_f64 v[25:26], v[65:66], s[6:7], v[25:26]
	;; [unrolled: 1-line block ×5, first 2 shown]
	v_add_f64 v[31:32], v[31:32], v[39:40]
	v_add_f64 v[17:18], v[5:6], v[17:18]
	v_add_f64 v[19:20], v[7:8], v[19:20]
	v_fma_f64 v[39:40], v[55:56], s[10:11], v[11:12]
	v_mul_f64 v[65:66], v[75:76], s[6:7]
	v_mul_f64 v[59:60], v[45:46], s[12:13]
	v_fma_f64 v[41:42], v[21:22], s[6:7], v[81:82]
	v_fma_f64 v[21:22], v[21:22], s[4:5], v[27:28]
	v_mul_f64 v[27:28], v[75:76], s[12:13]
	v_mul_f64 v[51:52], v[63:64], s[2:3]
	;; [unrolled: 1-line block ×6, first 2 shown]
	v_add_f64 v[29:30], v[29:30], v[37:38]
	v_fma_f64 v[37:38], v[55:56], s[10:11], v[9:10]
	v_fma_f64 v[55:56], v[69:70], s[10:11], v[13:14]
	;; [unrolled: 1-line block ×5, first 2 shown]
	v_add_f64 v[7:8], v[31:32], v[19:20]
	v_add_f64 v[11:12], v[31:32], -v[19:20]
	v_fma_f64 v[35:36], v[23:24], s[10:11], v[41:42]
	v_fma_f64 v[77:78], v[23:24], s[10:11], v[21:22]
	;; [unrolled: 1-line block ×4, first 2 shown]
	v_fma_f64 v[51:52], v[53:54], s[4:5], -v[59:60]
	v_fma_f64 v[53:54], v[15:16], s[12:13], v[65:66]
	v_fma_f64 v[49:50], v[49:50], s[2:3], -v[57:58]
	v_fma_f64 v[57:58], v[63:64], s[10:11], v[67:68]
	v_fma_f64 v[47:48], v[47:48], s[0:1], -v[71:72]
	v_fma_f64 v[45:46], v[45:46], s[6:7], -v[73:74]
	v_add_f64 v[5:6], v[29:30], v[17:18]
	v_add_f64 v[9:10], v[29:30], -v[17:18]
	v_add_f64 v[13:14], v[37:38], v[33:34]
	v_add_f64 v[17:18], v[55:56], v[41:42]
	;; [unrolled: 1-line block ×8, first 2 shown]
	v_add_f64 v[29:30], v[37:38], -v[33:34]
	v_add_f64 v[31:32], v[75:76], -v[53:54]
	;; [unrolled: 1-line block ×8, first 2 shown]
	ds_write_b128 v0, v[5:8]
	ds_write_b128 v0, v[9:12] offset:80
	ds_write_b128 v0, v[13:16] offset:16
	;; [unrolled: 1-line block ×9, first 2 shown]
	s_waitcnt lgkmcnt(0)
	s_barrier
	buffer_gl0_inv
	ds_read_b128 v[5:8], v0 offset:16
	ds_read2_b64 v[9:12], v0 offset0:17 offset1:18
	ds_read2_b64 v[13:16], v0 offset0:15 offset1:16
	ds_read_b128 v[17:20], v0 offset:32
	ds_read_b128 v[21:24], v0 offset:48
	ds_read2_b64 v[25:28], v0 offset0:13 offset1:14
	ds_read2_b64 v[29:32], v0 offset0:11 offset1:12
	ds_read_b128 v[33:36], v0 offset:64
	ds_read_b64 v[41:42], v0 offset:152
	ds_read_b128 v[37:40], v0
	s_load_dwordx16 s[0:15], s[8:9], 0x10
	s_waitcnt lgkmcnt(0)
	v_add_f64 v[43:44], v[5:6], -v[11:12]
	v_add_f64 v[5:6], v[5:6], v[11:12]
	v_add_f64 v[45:46], v[17:18], -v[15:16]
	v_add_f64 v[15:16], v[17:18], v[15:16]
	;; [unrolled: 2-line block ×7, first 2 shown]
	v_add_f64 v[25:26], v[35:36], -v[25:26]
	v_xor_b32_e32 v30, 0x80000000, v30
	v_mul_f64 v[35:36], v[43:44], 0.5
	v_mul_f64 v[43:44], v[45:46], 0.5
	;; [unrolled: 1-line block ×12, first 2 shown]
	v_add_f64 v[25:26], v[33:34], v[31:32]
	v_mul_f64 v[11:12], v[35:36], s[2:3]
	v_mul_f64 v[17:18], v[43:44], s[6:7]
	;; [unrolled: 1-line block ×4, first 2 shown]
	v_fma_f64 v[31:32], v[49:50], s[2:3], -v[7:8]
	v_fma_f64 v[33:34], v[49:50], s[2:3], v[7:8]
	v_fma_f64 v[55:56], v[41:42], s[6:7], -v[9:10]
	v_fma_f64 v[8:9], v[41:42], s[6:7], v[9:10]
	;; [unrolled: 2-line block ×4, first 2 shown]
	v_mov_b32_e32 v7, 0
	v_fma_f64 v[63:64], v[5:6], 0.5, v[11:12]
	v_fma_f64 v[65:66], v[5:6], 0.5, -v[11:12]
	v_fma_f64 v[67:68], v[15:16], 0.5, v[17:18]
	v_fma_f64 v[17:18], v[15:16], 0.5, -v[17:18]
	;; [unrolled: 2-line block ×4, first 2 shown]
	v_add_f64 v[5:6], v[37:38], v[39:40]
	v_add_f64 v[27:28], v[37:38], -v[39:40]
	v_fma_f64 v[31:32], -s[0:1], v[35:36], v[31:32]
	v_fma_f64 v[11:12], -s[0:1], v[35:36], v[33:34]
	;; [unrolled: 1-line block ×8, first 2 shown]
	v_mov_b32_e32 v8, v7
	v_fma_f64 v[9:10], v[49:50], s[0:1], v[63:64]
	v_fma_f64 v[39:40], -v[49:50], s[0:1], v[65:66]
	v_fma_f64 v[13:14], v[41:42], s[4:5], v[67:68]
	v_fma_f64 v[41:42], -v[41:42], s[4:5], v[17:18]
	;; [unrolled: 2-line block ×4, first 2 shown]
	ds_write_b64 v0, v[7:8] offset:168
	ds_write_b128 v0, v[5:8]
	ds_write2_b64 v0, v[31:32], v[27:28] offset0:19 offset1:20
	ds_write_b128 v0, v[9:12] offset:16
	ds_write2_b64 v0, v[33:34], v[39:40] offset0:17 offset1:18
	ds_write_b128 v0, v[13:16] offset:32
	;; [unrolled: 2-line block ×4, first 2 shown]
	ds_write2_b64 v0, v[29:30], v[25:26] offset0:11 offset1:12
	s_waitcnt lgkmcnt(0)
	s_barrier
	buffer_gl0_inv
	s_and_saveexec_b32 s0, vcc_lo
	s_cbranch_execz .LBB0_13
; %bb.12:
	v_mul_lo_u32 v9, s17, v3
	v_mul_lo_u32 v10, s16, v4
	v_mad_u64_u32 v[25:26], null, s16, v3, 0
	v_lshlrev_b64 v[45:46], 4, v[1:2]
	ds_read_b128 v[1:4], v0
	ds_read_b128 v[5:8], v0 offset:16
	v_add3_u32 v26, v26, v10, v9
	ds_read_b128 v[9:12], v0 offset:32
	ds_read_b128 v[13:16], v0 offset:48
	;; [unrolled: 1-line block ×4, first 2 shown]
	v_lshlrev_b64 v[47:48], 4, v[25:26]
	ds_read_b128 v[25:28], v0 offset:96
	ds_read_b128 v[29:32], v0 offset:112
	;; [unrolled: 1-line block ×5, first 2 shown]
	v_add_co_u32 v0, vcc_lo, s18, v47
	v_add_co_ci_u32_e32 v47, vcc_lo, s19, v48, vcc_lo
	v_add_co_u32 v45, vcc_lo, v0, v45
	v_add_co_ci_u32_e32 v46, vcc_lo, v47, v46, vcc_lo
	s_waitcnt lgkmcnt(10)
	global_store_dwordx4 v[45:46], v[1:4], off
	s_waitcnt lgkmcnt(9)
	global_store_dwordx4 v[45:46], v[5:8], off offset:16
	s_waitcnt lgkmcnt(8)
	global_store_dwordx4 v[45:46], v[9:12], off offset:32
	;; [unrolled: 2-line block ×10, first 2 shown]
.LBB0_13:
	s_endpgm
	.section	.rodata,"a",@progbits
	.p2align	6, 0x0
	.amdhsa_kernel fft_rtc_fwd_len10_factors_10_wgs_64_tpt_1_dp_op_CI_CI_unitstride_sbrr_R2C_dirReg
		.amdhsa_group_segment_fixed_size 0
		.amdhsa_private_segment_fixed_size 0
		.amdhsa_kernarg_size 104
		.amdhsa_user_sgpr_count 6
		.amdhsa_user_sgpr_private_segment_buffer 1
		.amdhsa_user_sgpr_dispatch_ptr 0
		.amdhsa_user_sgpr_queue_ptr 0
		.amdhsa_user_sgpr_kernarg_segment_ptr 1
		.amdhsa_user_sgpr_dispatch_id 0
		.amdhsa_user_sgpr_flat_scratch_init 0
		.amdhsa_user_sgpr_private_segment_size 0
		.amdhsa_wavefront_size32 1
		.amdhsa_uses_dynamic_stack 0
		.amdhsa_system_sgpr_private_segment_wavefront_offset 0
		.amdhsa_system_sgpr_workgroup_id_x 1
		.amdhsa_system_sgpr_workgroup_id_y 0
		.amdhsa_system_sgpr_workgroup_id_z 0
		.amdhsa_system_sgpr_workgroup_info 0
		.amdhsa_system_vgpr_workitem_id 0
		.amdhsa_next_free_vgpr 95
		.amdhsa_next_free_sgpr 27
		.amdhsa_reserve_vcc 1
		.amdhsa_reserve_flat_scratch 0
		.amdhsa_float_round_mode_32 0
		.amdhsa_float_round_mode_16_64 0
		.amdhsa_float_denorm_mode_32 3
		.amdhsa_float_denorm_mode_16_64 3
		.amdhsa_dx10_clamp 1
		.amdhsa_ieee_mode 1
		.amdhsa_fp16_overflow 0
		.amdhsa_workgroup_processor_mode 1
		.amdhsa_memory_ordered 1
		.amdhsa_forward_progress 0
		.amdhsa_shared_vgpr_count 0
		.amdhsa_exception_fp_ieee_invalid_op 0
		.amdhsa_exception_fp_denorm_src 0
		.amdhsa_exception_fp_ieee_div_zero 0
		.amdhsa_exception_fp_ieee_overflow 0
		.amdhsa_exception_fp_ieee_underflow 0
		.amdhsa_exception_fp_ieee_inexact 0
		.amdhsa_exception_int_div_zero 0
	.end_amdhsa_kernel
	.text
.Lfunc_end0:
	.size	fft_rtc_fwd_len10_factors_10_wgs_64_tpt_1_dp_op_CI_CI_unitstride_sbrr_R2C_dirReg, .Lfunc_end0-fft_rtc_fwd_len10_factors_10_wgs_64_tpt_1_dp_op_CI_CI_unitstride_sbrr_R2C_dirReg
                                        ; -- End function
	.section	.AMDGPU.csdata,"",@progbits
; Kernel info:
; codeLenInByte = 4008
; NumSgprs: 29
; NumVgprs: 95
; ScratchSize: 0
; MemoryBound: 1
; FloatMode: 240
; IeeeMode: 1
; LDSByteSize: 0 bytes/workgroup (compile time only)
; SGPRBlocks: 3
; VGPRBlocks: 11
; NumSGPRsForWavesPerEU: 29
; NumVGPRsForWavesPerEU: 95
; Occupancy: 10
; WaveLimiterHint : 1
; COMPUTE_PGM_RSRC2:SCRATCH_EN: 0
; COMPUTE_PGM_RSRC2:USER_SGPR: 6
; COMPUTE_PGM_RSRC2:TRAP_HANDLER: 0
; COMPUTE_PGM_RSRC2:TGID_X_EN: 1
; COMPUTE_PGM_RSRC2:TGID_Y_EN: 0
; COMPUTE_PGM_RSRC2:TGID_Z_EN: 0
; COMPUTE_PGM_RSRC2:TIDIG_COMP_CNT: 0
	.text
	.p2alignl 6, 3214868480
	.fill 48, 4, 3214868480
	.type	__hip_cuid_8a56f43d8fec0296,@object ; @__hip_cuid_8a56f43d8fec0296
	.section	.bss,"aw",@nobits
	.globl	__hip_cuid_8a56f43d8fec0296
__hip_cuid_8a56f43d8fec0296:
	.byte	0                               ; 0x0
	.size	__hip_cuid_8a56f43d8fec0296, 1

	.ident	"AMD clang version 19.0.0git (https://github.com/RadeonOpenCompute/llvm-project roc-6.4.0 25133 c7fe45cf4b819c5991fe208aaa96edf142730f1d)"
	.section	".note.GNU-stack","",@progbits
	.addrsig
	.addrsig_sym __hip_cuid_8a56f43d8fec0296
	.amdgpu_metadata
---
amdhsa.kernels:
  - .args:
      - .actual_access:  read_only
        .address_space:  global
        .offset:         0
        .size:           8
        .value_kind:     global_buffer
      - .offset:         8
        .size:           8
        .value_kind:     by_value
      - .actual_access:  read_only
        .address_space:  global
        .offset:         16
        .size:           8
        .value_kind:     global_buffer
      - .actual_access:  read_only
        .address_space:  global
        .offset:         24
        .size:           8
        .value_kind:     global_buffer
      - .actual_access:  read_only
        .address_space:  global
        .offset:         32
        .size:           8
        .value_kind:     global_buffer
      - .offset:         40
        .size:           8
        .value_kind:     by_value
      - .actual_access:  read_only
        .address_space:  global
        .offset:         48
        .size:           8
        .value_kind:     global_buffer
      - .actual_access:  read_only
        .address_space:  global
        .offset:         56
        .size:           8
        .value_kind:     global_buffer
      - .offset:         64
        .size:           4
        .value_kind:     by_value
      - .actual_access:  read_only
        .address_space:  global
        .offset:         72
        .size:           8
        .value_kind:     global_buffer
      - .actual_access:  read_only
        .address_space:  global
        .offset:         80
        .size:           8
        .value_kind:     global_buffer
      - .actual_access:  read_only
        .address_space:  global
        .offset:         88
        .size:           8
        .value_kind:     global_buffer
      - .actual_access:  write_only
        .address_space:  global
        .offset:         96
        .size:           8
        .value_kind:     global_buffer
    .group_segment_fixed_size: 0
    .kernarg_segment_align: 8
    .kernarg_segment_size: 104
    .language:       OpenCL C
    .language_version:
      - 2
      - 0
    .max_flat_workgroup_size: 64
    .name:           fft_rtc_fwd_len10_factors_10_wgs_64_tpt_1_dp_op_CI_CI_unitstride_sbrr_R2C_dirReg
    .private_segment_fixed_size: 0
    .sgpr_count:     29
    .sgpr_spill_count: 0
    .symbol:         fft_rtc_fwd_len10_factors_10_wgs_64_tpt_1_dp_op_CI_CI_unitstride_sbrr_R2C_dirReg.kd
    .uniform_work_group_size: 1
    .uses_dynamic_stack: false
    .vgpr_count:     95
    .vgpr_spill_count: 0
    .wavefront_size: 32
    .workgroup_processor_mode: 1
amdhsa.target:   amdgcn-amd-amdhsa--gfx1030
amdhsa.version:
  - 1
  - 2
...

	.end_amdgpu_metadata
